;; amdgpu-corpus repo=FlagOpen/FlagGems kind=triton arch=gfx950 opt=O3 lang=triton
	.amdgcn_target "amdgcn-amd-amdhsa--gfx950"
	.amdhsa_code_object_version 5
	.text
	.globl	bmm_kernel                      ; -- Begin function bmm_kernel
	.p2align	8
	.type	bmm_kernel,@function
bmm_kernel:                             ; @bmm_kernel
.Lfunc_begin0:
	.cfi_sections .debug_frame
	.cfi_startproc
; %bb.138:
	.file	1 "/root/src/amdgpu-assembly/repos/FlagOpen__FlagGems/triton_aot_kernels" "bmm_aot.py"
	.loc	1 8 0 prologue_end              ; bmm_aot.py:8:0
	s_load_dwordx2 s[2:3], s[0:1], 0x0
	s_load_dwordx8 s[4:11], s[0:1], 0x8
	s_load_dwordx4 s[12:15], s[0:1], 0x28
	s_waitcnt lgkmcnt(0)
	s_branch .LBB0_0
	.loc	1 0 0 is_stmt 0                 ; :0:0
.Ltmp0:
	.p2align	8
; %bb.139:
.LBB0_0:
.Ltmp1:
	.loc	1 46 32 is_stmt 1               ; bmm_aot.py:46:32
	s_load_dwordx2 s[22:23], s[0:1], 0x58
	.loc	1 35 17                         ; bmm_aot.py:35:17
	s_mul_i32 s20, s11, s18
	.loc	1 100 28                        ; bmm_aot.py:100:28
	v_readfirstlane_b32 s62, v0
	.loc	1 35 9                          ; bmm_aot.py:35:9
	s_ashr_i32 s21, s20, 31
	.loc	1 116 24                        ; bmm_aot.py:116:24
	s_and_b32 s66, s62, 0xc0
	.loc	1 35 9                          ; bmm_aot.py:35:9
	s_lshl_b64 s[56:57], s[20:21], 1
	s_add_u32 s20, s2, s56
	s_addc_u32 s21, s3, s57
	.loc	1 50 36                         ; bmm_aot.py:50:36
	s_waitcnt lgkmcnt(0)
	s_lshl_b32 s11, s23, 3
	.loc	1 52 26                         ; bmm_aot.py:52:26
	s_abs_i32 s19, s11
	v_cvt_f32_u32_e32 v1, s19
	s_sub_i32 s24, 0, s19
	.loc	1 48 28                         ; bmm_aot.py:48:28
	s_mul_i32 s17, s22, s17
	.loc	1 48 21 is_stmt 0               ; bmm_aot.py:48:21
	s_add_i32 s17, s17, s16
	.loc	1 52 26 is_stmt 1               ; bmm_aot.py:52:26
	v_rcp_iflag_f32_e32 v1, v1
	s_abs_i32 s23, s17
	s_xor_b32 s16, s17, s11
	s_ashr_i32 s16, s16, 31
	v_mul_f32_e32 v1, 0x4f7ffffe, v1
	v_cvt_u32_f32_e32 v1, v1
	.loc	1 60 43                         ; bmm_aot.py:60:43
	v_and_b32_e32 v36, 63, v0
	v_or_b32_e32 v37, s66, v36
	v_lshrrev_b32_e32 v2, 5, v37
	.loc	1 52 26                         ; bmm_aot.py:52:26
	v_readfirstlane_b32 s25, v1
	s_mul_i32 s24, s24, s25
	s_mul_hi_u32 s24, s25, s24
	s_add_i32 s25, s25, s24
	s_mul_hi_u32 s24, s23, s25
	s_mul_i32 s25, s24, s19
	s_sub_i32 s23, s23, s25
	s_add_i32 s25, s24, 1
	s_sub_i32 s26, s23, s19
	s_cmp_ge_u32 s23, s19
	s_cselect_b32 s24, s25, s24
	s_cselect_b32 s23, s26, s23
	s_add_i32 s25, s24, 1
	s_cmp_ge_u32 s23, s19
	s_cselect_b32 s19, s25, s24
	s_xor_b32 s19, s19, s16
	s_sub_i32 s16, s19, s16
	.loc	1 55 60                         ; bmm_aot.py:55:60
	s_ashr_i32 s19, s22, 31
	s_lshr_b32 s19, s19, 29
	s_add_i32 s19, s22, s19
	.loc	1 53 31                         ; bmm_aot.py:53:31
	s_mul_i32 s11, s16, s11
	.loc	1 55 24                         ; bmm_aot.py:55:24
	s_lshl_b32 s16, s16, 3
	.loc	1 55 60 is_stmt 0               ; bmm_aot.py:55:60
	s_and_b32 s19, s19, -8
	.loc	1 53 31 is_stmt 1               ; bmm_aot.py:53:31
	s_sub_i32 s11, s17, s11
	.loc	1 55 34                         ; bmm_aot.py:55:34
	s_add_i32 s17, s16, 8
	.loc	1 55 60 is_stmt 0               ; bmm_aot.py:55:60
	s_sub_i32 s19, s22, s19
	.loc	1 55 45                         ; bmm_aot.py:55:45
	s_cmp_gt_i32 s17, s22
	.loc	1 55 69                         ; bmm_aot.py:55:69
	s_cselect_b32 s17, s19, 8
	.loc	1 58 34 is_stmt 1               ; bmm_aot.py:58:34
	s_abs_i32 s19, s17
	v_cvt_f32_u32_e32 v1, s19
	s_sub_i32 s23, 0, s19
	s_xor_b32 s22, s11, s17
	s_ashr_i32 s67, s22, 31
	v_rcp_iflag_f32_e32 v1, v1
	s_abs_i32 s22, s11
	v_mov_b32_e32 v38, 0
	v_mov_b32_e32 v40, 0
	v_mul_f32_e32 v1, 0x4f7ffffe, v1
	v_cvt_u32_f32_e32 v1, v1
	s_nop 0
	v_readfirstlane_b32 s24, v1
	s_mul_i32 s23, s23, s24
	s_mul_hi_u32 s23, s24, s23
	s_add_i32 s24, s24, s23
	s_mul_hi_u32 s23, s22, s24
	s_mul_i32 s24, s23, s19
	s_sub_i32 s22, s22, s24
	s_add_i32 s24, s23, 1
	s_sub_i32 s25, s22, s19
	s_cmp_ge_u32 s22, s19
	s_cselect_b32 s23, s24, s23
	s_cselect_b32 s22, s25, s22
	s_add_i32 s24, s23, 1
	s_cmp_ge_u32 s22, s19
	s_cselect_b32 s19, s24, s23
	s_xor_b32 s68, s19, s67
	s_sub_i32 s19, s68, s67
	.loc	1 57 54                         ; bmm_aot.py:57:54
	s_mul_i32 s17, s19, s17
	s_sub_i32 s11, s11, s17
	.loc	1 57 37 is_stmt 0               ; bmm_aot.py:57:37
	s_add_i32 s11, s11, s16
	.loc	1 60 21 is_stmt 1               ; bmm_aot.py:60:21
	s_lshl_b32 s11, s11, 6
	.loc	1 60 30 is_stmt 0               ; bmm_aot.py:60:30
	v_or_b32_e32 v16, s11, v2
	.loc	1 60 43                         ; bmm_aot.py:60:43
	v_and_b32_e32 v1, 31, v0
	.loc	1 69 35 is_stmt 1               ; bmm_aot.py:69:35
	v_mul_lo_u32 v2, v16, s12
.Ltmp2:
	.file	2 "/root/.local/lib/python3.13/site-packages/triton/language" "standard.py"
	.loc	2 43 17                         ; standard.py:43:17 @[ bmm_aot.py:73:27 ]
	s_add_i32 s69, s10, 31
.Ltmp3:
	.loc	1 65 26                         ; bmm_aot.py:65:26
	v_cmp_gt_i32_e64 s[22:23], s8, v16
	.loc	1 69 17                         ; bmm_aot.py:69:17
	v_ashrrev_i32_e32 v3, 31, v2
	.loc	1 69 65 is_stmt 0               ; bmm_aot.py:69:65
	v_mul_lo_u32 v18, s13, v1
	.loc	1 78 19 is_stmt 1               ; bmm_aot.py:78:19
	s_cmp_gt_i32 s69, 31
	.loc	1 89 30                         ; bmm_aot.py:89:30
	v_cmp_gt_i32_e32 vcc, s10, v1
	.loc	1 69 17                         ; bmm_aot.py:69:17
	v_lshl_add_u64 v[2:3], v[2:3], 1, s[20:21]
	.loc	1 69 47 is_stmt 0               ; bmm_aot.py:69:47
	v_ashrrev_i32_e32 v19, 31, v18
	.loc	1 78 19 is_stmt 1               ; bmm_aot.py:78:19
	s_cselect_b64 s[38:39], -1, 0
	.loc	1 93 43                         ; bmm_aot.py:93:43
	s_and_b64 s[16:17], vcc, s[22:23]
	.loc	1 69 47                         ; bmm_aot.py:69:47
	v_lshl_add_u64 v[2:3], v[18:19], 1, v[2:3]
	.loc	1 78 19                         ; bmm_aot.py:78:19
	s_and_b64 s[24:25], s[38:39], s[16:17]
	.loc	1 99 28                         ; bmm_aot.py:99:28
	s_and_saveexec_b64 s[16:17], s[24:25]
	s_cbranch_execz .LBB0_2
; %bb.1:
	global_load_ushort v40, v[2:3], off
.LBB0_2:
	.loc	1 0 28 is_stmt 0                ; bmm_aot.py:0:28
	s_or_b64 exec, exec, s[16:17]
	.loc	1 60 30 is_stmt 1               ; bmm_aot.py:60:30
	v_or_b32_e32 v4, 8, v16
	.loc	1 65 26                         ; bmm_aot.py:65:26
	v_cmp_gt_i32_e64 s[24:25], s8, v4
	.loc	1 69 35                         ; bmm_aot.py:69:35
	v_mul_lo_u32 v4, v4, s12
	.loc	1 69 17 is_stmt 0               ; bmm_aot.py:69:17
	v_ashrrev_i32_e32 v5, 31, v4
	v_lshl_add_u64 v[4:5], v[4:5], 1, s[20:21]
	.loc	1 93 43 is_stmt 1               ; bmm_aot.py:93:43
	s_and_b64 s[16:17], vcc, s[24:25]
	.loc	1 69 47                         ; bmm_aot.py:69:47
	v_lshl_add_u64 v[4:5], v[18:19], 1, v[4:5]
	.loc	1 78 19                         ; bmm_aot.py:78:19
	s_and_b64 s[26:27], s[38:39], s[16:17]
	.loc	1 99 28                         ; bmm_aot.py:99:28
	s_and_saveexec_b64 s[16:17], s[26:27]
	s_cbranch_execz .LBB0_4
; %bb.3:
	global_load_ushort v38, v[4:5], off
.LBB0_4:
	.loc	1 0 28 is_stmt 0                ; bmm_aot.py:0:28
	s_or_b64 exec, exec, s[16:17]
	.loc	1 60 30 is_stmt 1               ; bmm_aot.py:60:30
	v_or_b32_e32 v6, 16, v16
	.loc	1 65 26                         ; bmm_aot.py:65:26
	v_cmp_gt_i32_e64 s[26:27], s8, v6
	.loc	1 69 35                         ; bmm_aot.py:69:35
	v_mul_lo_u32 v6, v6, s12
	.loc	1 69 17 is_stmt 0               ; bmm_aot.py:69:17
	v_ashrrev_i32_e32 v7, 31, v6
	v_lshl_add_u64 v[6:7], v[6:7], 1, s[20:21]
	.loc	1 93 43 is_stmt 1               ; bmm_aot.py:93:43
	s_and_b64 s[16:17], vcc, s[26:27]
	.loc	1 69 47                         ; bmm_aot.py:69:47
	v_lshl_add_u64 v[6:7], v[18:19], 1, v[6:7]
	.loc	1 78 19                         ; bmm_aot.py:78:19
	s_and_b64 s[28:29], s[38:39], s[16:17]
	v_mov_b32_e32 v41, 0
	v_mov_b32_e32 v42, 0
	.loc	1 99 28                         ; bmm_aot.py:99:28
	s_and_saveexec_b64 s[16:17], s[28:29]
	s_cbranch_execz .LBB0_6
; %bb.5:
	global_load_ushort v42, v[6:7], off
.LBB0_6:
	.loc	1 0 28 is_stmt 0                ; bmm_aot.py:0:28
	s_or_b64 exec, exec, s[16:17]
	.loc	1 60 30 is_stmt 1               ; bmm_aot.py:60:30
	v_or_b32_e32 v8, 24, v16
	.loc	1 65 26                         ; bmm_aot.py:65:26
	v_cmp_gt_i32_e64 s[30:31], s8, v8
	.loc	1 69 35                         ; bmm_aot.py:69:35
	v_mul_lo_u32 v8, v8, s12
	.loc	1 69 17 is_stmt 0               ; bmm_aot.py:69:17
	v_ashrrev_i32_e32 v9, 31, v8
	v_lshl_add_u64 v[8:9], v[8:9], 1, s[20:21]
	.loc	1 93 43 is_stmt 1               ; bmm_aot.py:93:43
	s_and_b64 s[16:17], vcc, s[30:31]
	.loc	1 69 47                         ; bmm_aot.py:69:47
	v_lshl_add_u64 v[8:9], v[18:19], 1, v[8:9]
	.loc	1 78 19                         ; bmm_aot.py:78:19
	s_and_b64 s[28:29], s[38:39], s[16:17]
	.loc	1 99 28                         ; bmm_aot.py:99:28
	s_and_saveexec_b64 s[16:17], s[28:29]
	s_cbranch_execz .LBB0_8
; %bb.7:
	global_load_ushort v41, v[8:9], off
.LBB0_8:
	.loc	1 0 28 is_stmt 0                ; bmm_aot.py:0:28
	s_or_b64 exec, exec, s[16:17]
	.loc	1 60 30 is_stmt 1               ; bmm_aot.py:60:30
	v_or_b32_e32 v10, 32, v16
	.loc	1 65 26                         ; bmm_aot.py:65:26
	v_cmp_gt_i32_e64 s[34:35], s8, v10
	.loc	1 69 35                         ; bmm_aot.py:69:35
	v_mul_lo_u32 v10, v10, s12
	.loc	1 69 17 is_stmt 0               ; bmm_aot.py:69:17
	v_ashrrev_i32_e32 v11, 31, v10
	v_lshl_add_u64 v[10:11], v[10:11], 1, s[20:21]
	.loc	1 93 43 is_stmt 1               ; bmm_aot.py:93:43
	s_and_b64 s[16:17], vcc, s[34:35]
	.loc	1 69 47                         ; bmm_aot.py:69:47
	v_lshl_add_u64 v[10:11], v[18:19], 1, v[10:11]
	.loc	1 78 19                         ; bmm_aot.py:78:19
	s_and_b64 s[28:29], s[38:39], s[16:17]
	v_mov_b32_e32 v43, 0
	v_mov_b32_e32 v44, 0
	;; [unrolled: 48-line block ×3, first 2 shown]
	.loc	1 99 28                         ; bmm_aot.py:99:28
	s_and_saveexec_b64 s[28:29], s[40:41]
	s_cbranch_execz .LBB0_14
; %bb.13:
	global_load_ushort v46, v[14:15], off
.LBB0_14:
	.loc	1 0 28 is_stmt 0                ; bmm_aot.py:0:28
	s_or_b64 exec, exec, s[28:29]
	s_load_dword s70, s[0:1], 0x38
	.loc	1 60 30 is_stmt 1               ; bmm_aot.py:60:30
	v_or_b32_e32 v16, 56, v16
	.loc	1 65 26                         ; bmm_aot.py:65:26
	v_cmp_gt_i32_e64 s[28:29], s8, v16
	.loc	1 69 35                         ; bmm_aot.py:69:35
	v_mul_lo_u32 v16, v16, s12
	.loc	1 69 17 is_stmt 0               ; bmm_aot.py:69:17
	v_ashrrev_i32_e32 v17, 31, v16
	v_lshl_add_u64 v[16:17], v[16:17], 1, s[20:21]
	.loc	1 93 43 is_stmt 1               ; bmm_aot.py:93:43
	s_and_b64 s[20:21], vcc, s[28:29]
	.loc	1 69 47                         ; bmm_aot.py:69:47
	v_lshl_add_u64 v[16:17], v[18:19], 1, v[16:17]
	.loc	1 78 19                         ; bmm_aot.py:78:19
	s_and_b64 s[40:41], s[38:39], s[20:21]
	.loc	1 99 28                         ; bmm_aot.py:99:28
	s_and_saveexec_b64 s[20:21], s[40:41]
	s_cbranch_execz .LBB0_16
; %bb.15:
	global_load_ushort v45, v[16:17], off
.LBB0_16:
	.loc	1 0 28 is_stmt 0                ; bmm_aot.py:0:28
	s_or_b64 exec, exec, s[20:21]
	.loc	1 36 17 is_stmt 1               ; bmm_aot.py:36:17
	s_mul_i32 s20, s14, s18
	.loc	1 36 9 is_stmt 0                ; bmm_aot.py:36:9
	s_ashr_i32 s21, s20, 31
	s_lshl_b64 s[58:59], s[20:21], 1
	s_add_u32 s14, s4, s58
	s_addc_u32 s33, s5, s59
	.loc	1 62 26 is_stmt 1               ; bmm_aot.py:62:26
	s_lshr_b32 s64, s66, 6
	.loc	1 70 35                         ; bmm_aot.py:70:35
	s_mul_i32 s54, s64, s15
	.loc	1 70 17 is_stmt 0               ; bmm_aot.py:70:17
	s_ashr_i32 s55, s54, 31
	.loc	1 61 21 is_stmt 1               ; bmm_aot.py:61:21
	s_lshl_b32 s19, s19, 6
	.loc	1 70 17                         ; bmm_aot.py:70:17
	s_lshl_b64 s[40:41], s[54:55], 1
	.loc	1 61 30                         ; bmm_aot.py:61:30
	v_or_b32_e32 v20, s19, v36
	.loc	1 70 17                         ; bmm_aot.py:70:17
	s_add_u32 s42, s14, s40
	s_addc_u32 s43, s33, s41
	.loc	1 70 65 is_stmt 0               ; bmm_aot.py:70:65
	s_waitcnt lgkmcnt(0)
	v_mul_lo_u32 v34, v20, s70
	.loc	1 70 47                         ; bmm_aot.py:70:47
	v_ashrrev_i32_e32 v35, 31, v34
	.loc	1 89 30 is_stmt 1               ; bmm_aot.py:89:30
	s_cmp_lt_i32 s64, s10
	.loc	1 67 26                         ; bmm_aot.py:67:26
	v_cmp_gt_i32_e64 s[20:21], s9, v20
	.loc	1 70 47                         ; bmm_aot.py:70:47
	v_lshl_add_u64 v[20:21], v[34:35], 1, s[42:43]
	.loc	1 89 30                         ; bmm_aot.py:89:30
	s_cselect_b64 s[42:43], -1, 0
	.loc	1 97 43                         ; bmm_aot.py:97:43
	s_and_b64 s[42:43], s[42:43], s[20:21]
	.loc	1 78 19                         ; bmm_aot.py:78:19
	s_and_b64 s[44:45], s[38:39], s[42:43]
	v_mov_b32_e32 v47, 0
	v_mov_b32_e32 v48, 0
	.loc	1 100 28                        ; bmm_aot.py:100:28
	s_and_saveexec_b64 s[42:43], s[44:45]
	s_cbranch_execz .LBB0_18
; %bb.17:
	global_load_ushort v48, v[20:21], off
.LBB0_18:
	.loc	1 0 28 is_stmt 0                ; bmm_aot.py:0:28
	s_or_b64 exec, exec, s[42:43]
	.loc	1 70 35 is_stmt 1               ; bmm_aot.py:70:35
	s_lshl2_add_u32 s42, s15, s54
	.loc	1 70 17 is_stmt 0               ; bmm_aot.py:70:17
	s_ashr_i32 s43, s42, 31
	.loc	1 62 26 is_stmt 1               ; bmm_aot.py:62:26
	s_or_b32 s46, s64, 4
	.loc	1 70 17                         ; bmm_aot.py:70:17
	s_lshl_b64 s[42:43], s[42:43], 1
	s_add_u32 s44, s14, s42
	s_addc_u32 s45, s33, s43
	.loc	1 89 30                         ; bmm_aot.py:89:30
	s_cmp_lt_i32 s46, s10
	.loc	1 70 47                         ; bmm_aot.py:70:47
	v_lshl_add_u64 v[22:23], v[34:35], 1, s[44:45]
	.loc	1 89 30                         ; bmm_aot.py:89:30
	s_cselect_b64 s[44:45], -1, 0
	.loc	1 97 43                         ; bmm_aot.py:97:43
	s_and_b64 s[44:45], s[44:45], s[20:21]
	.loc	1 78 19                         ; bmm_aot.py:78:19
	s_and_b64 s[46:47], s[38:39], s[44:45]
	.loc	1 100 28                        ; bmm_aot.py:100:28
	s_and_saveexec_b64 s[44:45], s[46:47]
	s_cbranch_execz .LBB0_20
; %bb.19:
	global_load_ushort v47, v[22:23], off
.LBB0_20:
	.loc	1 0 28 is_stmt 0                ; bmm_aot.py:0:28
	s_or_b64 exec, exec, s[44:45]
	.loc	1 70 35 is_stmt 1               ; bmm_aot.py:70:35
	s_lshl3_add_u32 s44, s15, s54
	.loc	1 70 17 is_stmt 0               ; bmm_aot.py:70:17
	s_ashr_i32 s45, s44, 31
	.loc	1 62 26 is_stmt 1               ; bmm_aot.py:62:26
	s_or_b32 s48, s64, 8
	.loc	1 70 17                         ; bmm_aot.py:70:17
	s_lshl_b64 s[44:45], s[44:45], 1
	s_add_u32 s46, s14, s44
	s_addc_u32 s47, s33, s45
	.loc	1 89 30                         ; bmm_aot.py:89:30
	s_cmp_lt_i32 s48, s10
	.loc	1 70 47                         ; bmm_aot.py:70:47
	v_lshl_add_u64 v[24:25], v[34:35], 1, s[46:47]
	.loc	1 89 30                         ; bmm_aot.py:89:30
	s_cselect_b64 s[46:47], -1, 0
	.loc	1 97 43                         ; bmm_aot.py:97:43
	s_and_b64 s[46:47], s[46:47], s[20:21]
	.loc	1 78 19                         ; bmm_aot.py:78:19
	s_and_b64 s[48:49], s[38:39], s[46:47]
	v_mov_b32_e32 v49, 0
	v_mov_b32_e32 v50, 0
	.loc	1 100 28                        ; bmm_aot.py:100:28
	s_and_saveexec_b64 s[46:47], s[48:49]
	s_cbranch_execz .LBB0_22
; %bb.21:
	global_load_ushort v50, v[24:25], off
.LBB0_22:
	.loc	1 0 28 is_stmt 0                ; bmm_aot.py:0:28
	s_or_b64 exec, exec, s[46:47]
	.loc	1 70 35 is_stmt 1               ; bmm_aot.py:70:35
	s_mul_i32 s46, s15, 12
	s_add_i32 s46, s54, s46
	.loc	1 70 17 is_stmt 0               ; bmm_aot.py:70:17
	s_ashr_i32 s47, s46, 31
	.loc	1 62 26 is_stmt 1               ; bmm_aot.py:62:26
	s_or_b32 s50, s64, 12
	.loc	1 70 17                         ; bmm_aot.py:70:17
	s_lshl_b64 s[46:47], s[46:47], 1
	s_add_u32 s48, s14, s46
	s_addc_u32 s49, s33, s47
	.loc	1 89 30                         ; bmm_aot.py:89:30
	s_cmp_lt_i32 s50, s10
	.loc	1 70 47                         ; bmm_aot.py:70:47
	v_lshl_add_u64 v[26:27], v[34:35], 1, s[48:49]
	.loc	1 89 30                         ; bmm_aot.py:89:30
	s_cselect_b64 s[48:49], -1, 0
	.loc	1 97 43                         ; bmm_aot.py:97:43
	s_and_b64 s[48:49], s[48:49], s[20:21]
	.loc	1 78 19                         ; bmm_aot.py:78:19
	s_and_b64 s[50:51], s[38:39], s[48:49]
	.loc	1 100 28                        ; bmm_aot.py:100:28
	s_and_saveexec_b64 s[48:49], s[50:51]
	s_cbranch_execz .LBB0_24
; %bb.23:
	global_load_ushort v49, v[26:27], off
.LBB0_24:
	.loc	1 0 28 is_stmt 0                ; bmm_aot.py:0:28
	s_or_b64 exec, exec, s[48:49]
	.loc	1 70 35 is_stmt 1               ; bmm_aot.py:70:35
	s_lshl4_add_u32 s48, s15, s54
	.loc	1 70 17 is_stmt 0               ; bmm_aot.py:70:17
	s_ashr_i32 s49, s48, 31
	.loc	1 62 26 is_stmt 1               ; bmm_aot.py:62:26
	s_or_b32 s52, s64, 16
	.loc	1 70 17                         ; bmm_aot.py:70:17
	s_lshl_b64 s[48:49], s[48:49], 1
	s_add_u32 s50, s14, s48
	s_addc_u32 s51, s33, s49
	.loc	1 89 30                         ; bmm_aot.py:89:30
	s_cmp_lt_i32 s52, s10
	.loc	1 70 47                         ; bmm_aot.py:70:47
	v_lshl_add_u64 v[28:29], v[34:35], 1, s[50:51]
	.loc	1 89 30                         ; bmm_aot.py:89:30
	s_cselect_b64 s[50:51], -1, 0
	.loc	1 97 43                         ; bmm_aot.py:97:43
	s_and_b64 s[50:51], s[50:51], s[20:21]
	.loc	1 78 19                         ; bmm_aot.py:78:19
	s_and_b64 s[52:53], s[38:39], s[50:51]
	v_mov_b32_e32 v51, 0
	v_mov_b32_e32 v52, 0
	.loc	1 100 28                        ; bmm_aot.py:100:28
	s_and_saveexec_b64 s[50:51], s[52:53]
	s_cbranch_execz .LBB0_26
; %bb.25:
	global_load_ushort v52, v[28:29], off
.LBB0_26:
	.loc	1 0 28 is_stmt 0                ; bmm_aot.py:0:28
	s_or_b64 exec, exec, s[50:51]
	.loc	1 70 35 is_stmt 1               ; bmm_aot.py:70:35
	s_mul_i32 s50, s15, 20
	s_add_i32 s50, s54, s50
	.loc	1 70 17 is_stmt 0               ; bmm_aot.py:70:17
	s_ashr_i32 s51, s50, 31
	.loc	1 62 26 is_stmt 1               ; bmm_aot.py:62:26
	s_or_b32 s55, s64, 20
	.loc	1 70 17                         ; bmm_aot.py:70:17
	s_lshl_b64 s[50:51], s[50:51], 1
	s_add_u32 s52, s14, s50
	s_addc_u32 s53, s33, s51
	.loc	1 89 30                         ; bmm_aot.py:89:30
	s_cmp_lt_i32 s55, s10
	.loc	1 70 47                         ; bmm_aot.py:70:47
	v_lshl_add_u64 v[30:31], v[34:35], 1, s[52:53]
	.loc	1 89 30                         ; bmm_aot.py:89:30
	s_cselect_b64 s[52:53], -1, 0
	.loc	1 97 43                         ; bmm_aot.py:97:43
	s_and_b64 s[52:53], s[52:53], s[20:21]
	.loc	1 78 19                         ; bmm_aot.py:78:19
	s_and_b64 s[60:61], s[38:39], s[52:53]
	.loc	1 100 28                        ; bmm_aot.py:100:28
	s_and_saveexec_b64 s[52:53], s[60:61]
	s_cbranch_execz .LBB0_28
; %bb.27:
	global_load_ushort v51, v[30:31], off
.LBB0_28:
	.loc	1 0 28 is_stmt 0                ; bmm_aot.py:0:28
	s_or_b64 exec, exec, s[52:53]
	.loc	1 70 35 is_stmt 1               ; bmm_aot.py:70:35
	s_mul_i32 s52, s15, 24
	s_add_i32 s52, s54, s52
	.loc	1 70 17 is_stmt 0               ; bmm_aot.py:70:17
	s_ashr_i32 s53, s52, 31
	.loc	1 62 26 is_stmt 1               ; bmm_aot.py:62:26
	s_or_b32 s55, s64, 24
	.loc	1 70 17                         ; bmm_aot.py:70:17
	s_lshl_b64 s[52:53], s[52:53], 1
	s_add_u32 s60, s14, s52
	s_addc_u32 s61, s33, s53
	.loc	1 89 30                         ; bmm_aot.py:89:30
	s_cmp_lt_i32 s55, s10
	.loc	1 70 47                         ; bmm_aot.py:70:47
	v_lshl_add_u64 v[32:33], v[34:35], 1, s[60:61]
	.loc	1 89 30                         ; bmm_aot.py:89:30
	s_cselect_b64 s[60:61], -1, 0
	.loc	1 97 43                         ; bmm_aot.py:97:43
	s_and_b64 s[60:61], s[60:61], s[20:21]
	.loc	1 78 19                         ; bmm_aot.py:78:19
	s_and_b64 s[72:73], s[38:39], s[60:61]
	v_mov_b32_e32 v53, 0
	v_mov_b32_e32 v54, 0
	.loc	1 100 28                        ; bmm_aot.py:100:28
	s_and_saveexec_b64 s[60:61], s[72:73]
	s_cbranch_execz .LBB0_30
; %bb.29:
	global_load_ushort v54, v[32:33], off
.LBB0_30:
	.loc	1 0 28 is_stmt 0                ; bmm_aot.py:0:28
	s_or_b64 exec, exec, s[60:61]
	.loc	1 70 35 is_stmt 1               ; bmm_aot.py:70:35
	s_mul_i32 s55, s15, 28
	s_add_i32 s54, s54, s55
	.loc	1 70 17 is_stmt 0               ; bmm_aot.py:70:17
	s_ashr_i32 s55, s54, 31
	.loc	1 62 26 is_stmt 1               ; bmm_aot.py:62:26
	s_or_b32 s63, s64, 28
	.loc	1 70 17                         ; bmm_aot.py:70:17
	s_lshl_b64 s[54:55], s[54:55], 1
	s_add_u32 s60, s14, s54
	s_addc_u32 s61, s33, s55
	.loc	1 89 30                         ; bmm_aot.py:89:30
	s_cmp_lt_i32 s63, s10
	.loc	1 70 47                         ; bmm_aot.py:70:47
	v_lshl_add_u64 v[34:35], v[34:35], 1, s[60:61]
	.loc	1 89 30                         ; bmm_aot.py:89:30
	s_cselect_b64 s[60:61], -1, 0
	.loc	1 97 43                         ; bmm_aot.py:97:43
	s_and_b64 s[60:61], s[60:61], s[20:21]
	.loc	1 78 19                         ; bmm_aot.py:78:19
	s_and_b64 s[72:73], s[38:39], s[60:61]
	.loc	1 100 28                        ; bmm_aot.py:100:28
	s_and_saveexec_b64 s[60:61], s[72:73]
	s_cbranch_execz .LBB0_32
; %bb.31:
	global_load_ushort v53, v[34:35], off
.LBB0_32:
	.loc	1 0 28 is_stmt 0                ; bmm_aot.py:0:28
	s_or_b64 exec, exec, s[60:61]
	.loc	1 60 43 is_stmt 1               ; bmm_aot.py:60:43
	s_bfe_i32 s14, s62, 0x10007
	.loc	1 99 28                         ; bmm_aot.py:99:28
	v_lshlrev_b32_e32 v37, 1, v37
	s_and_b32 s14, s14, 0x110
	v_mov_b32_e32 v39, 0xfe
	v_bitop3_b32 v37, v37, s14, v39 bitop3:0x6c
	v_add_u32_e32 v39, 0, v37
	s_waitcnt vmcnt(0)
	ds_write_b16 v39, v40
	ds_write_b16 v39, v42 offset:1024
	ds_write_b16 v39, v44 offset:2048
	;; [unrolled: 1-line block ×3, first 2 shown]
	v_xor_b32_e32 v40, 32, v37
	v_add_u32_e32 v40, 0, v40
	.loc	1 60 43                         ; bmm_aot.py:60:43
	s_and_b32 s33, s62, 64
	.loc	1 99 28                         ; bmm_aot.py:99:28
	ds_write_b16 v40, v38 offset:512
	ds_write_b16 v40, v41 offset:1536
	;; [unrolled: 1-line block ×4, first 2 shown]
	.loc	1 100 28                        ; bmm_aot.py:100:28
	ds_write_b16 v39, v48 offset:4096
	ds_write_b16 v39, v52 offset:6144
	;; [unrolled: 1-line block ×4, first 2 shown]
	v_xor_b32_e32 v38, 64, v37
	v_xor_b32_e32 v37, 0x60, v37
	v_add_u32_e32 v41, 0, v38
	v_add_u32_e32 v42, 0, v37
	.loc	1 78 19                         ; bmm_aot.py:78:19
	s_cmp_gt_i32 s69, 63
	v_lshlrev_b32_e32 v37, 5, v0
	v_lshlrev_b32_e32 v47, 3, v0
	;; [unrolled: 1-line block ×3, first 2 shown]
	.loc	1 100 28                        ; bmm_aot.py:100:28
	ds_write_b16 v41, v50 offset:5120
	ds_write_b16 v41, v54 offset:7168
	;; [unrolled: 1-line block ×4, first 2 shown]
	.loc	1 78 19                         ; bmm_aot.py:78:19
	s_cbranch_scc1 .LBB0_35
; %bb.33:                               ; %.._crit_edge_crit_edge
	.loc	1 100 28                        ; bmm_aot.py:100:28
	v_and_b32_e32 v38, 0x580, v37
	v_and_b32_e32 v43, 24, v47
	;; [unrolled: 1-line block ×3, first 2 shown]
	v_bitop3_b32 v38, v38, v44, v43 bitop3:0x36
	v_xor_b32_e32 v45, s33, v38
	v_xor_b32_e32 v46, 0x220, v45
	s_and_b32 s65, s62, 0x80
	v_and_b32_e32 v38, 32, v0
	s_cbranch_execz .LBB0_36
; %bb.34:
	.loc	1 0 28 is_stmt 0                ; bmm_aot.py:0:28
	v_mov_b32_e32 v17, 0
	v_mov_b32_e32 v16, v17
	;; [unrolled: 1-line block ×16, first 2 shown]
	s_branch .LBB0_103
.LBB0_35:
                                        ; implicit-def: $vgpr45
                                        ; implicit-def: $vgpr46
	s_and_b32 s65, s62, 0x80
	v_and_b32_e32 v38, 32, v0
.LBB0_36:                               ; %.lr.ph
	.loc	1 102 18 is_stmt 1              ; bmm_aot.py:102:18
	v_or_b32_e32 v43, 32, v1
	.loc	1 103 27                        ; bmm_aot.py:103:27
	s_lshl_b32 s60, s13, 5
	.loc	1 89 30                         ; bmm_aot.py:89:30
	v_cmp_gt_u32_e32 vcc, s10, v43
	s_ashr_i32 s61, s60, 31
	.loc	1 93 43                         ; bmm_aot.py:93:43
	s_and_b64 s[72:73], s[22:23], vcc
	v_mov_b32_e32 v49, 0
	v_mov_b32_e32 v58, 0
	.loc	1 99 28                         ; bmm_aot.py:99:28
	s_and_saveexec_b64 s[62:63], s[72:73]
	s_cbranch_execz .LBB0_38
; %bb.37:
	.loc	1 103 18                        ; bmm_aot.py:103:18
	v_lshl_add_u64 v[2:3], s[60:61], 1, v[2:3]
	.loc	1 99 28                         ; bmm_aot.py:99:28
	global_load_ushort v58, v[2:3], off
.LBB0_38:
	.loc	1 0 28 is_stmt 0                ; bmm_aot.py:0:28
	s_or_b64 exec, exec, s[62:63]
	.loc	1 93 43 is_stmt 1               ; bmm_aot.py:93:43
	s_and_b64 s[72:73], s[24:25], vcc
	.loc	1 99 28                         ; bmm_aot.py:99:28
	s_and_saveexec_b64 s[62:63], s[72:73]
	s_cbranch_execz .LBB0_40
; %bb.39:
	.loc	1 103 18                        ; bmm_aot.py:103:18
	v_lshl_add_u64 v[2:3], s[60:61], 1, v[4:5]
	.loc	1 99 28                         ; bmm_aot.py:99:28
	global_load_ushort v49, v[2:3], off
.LBB0_40:
	.loc	1 0 28 is_stmt 0                ; bmm_aot.py:0:28
	s_or_b64 exec, exec, s[62:63]
	.loc	1 93 43 is_stmt 1               ; bmm_aot.py:93:43
	s_and_b64 s[72:73], s[26:27], vcc
	v_mov_b32_e32 v59, 0
	v_mov_b32_e32 v60, 0
	.loc	1 99 28                         ; bmm_aot.py:99:28
	s_and_saveexec_b64 s[62:63], s[72:73]
	s_cbranch_execz .LBB0_42
; %bb.41:
	.loc	1 103 18                        ; bmm_aot.py:103:18
	v_lshl_add_u64 v[2:3], s[60:61], 1, v[6:7]
	.loc	1 99 28                         ; bmm_aot.py:99:28
	global_load_ushort v60, v[2:3], off
.LBB0_42:
	.loc	1 0 28 is_stmt 0                ; bmm_aot.py:0:28
	s_or_b64 exec, exec, s[62:63]
	.loc	1 93 43 is_stmt 1               ; bmm_aot.py:93:43
	s_and_b64 s[72:73], s[30:31], vcc
	.loc	1 99 28                         ; bmm_aot.py:99:28
	s_and_saveexec_b64 s[62:63], s[72:73]
	s_cbranch_execz .LBB0_44
; %bb.43:
	.loc	1 103 18                        ; bmm_aot.py:103:18
	v_lshl_add_u64 v[2:3], s[60:61], 1, v[8:9]
	.loc	1 99 28                         ; bmm_aot.py:99:28
	global_load_ushort v59, v[2:3], off
.LBB0_44:
	.loc	1 0 28 is_stmt 0                ; bmm_aot.py:0:28
	s_or_b64 exec, exec, s[62:63]
	.loc	1 93 43 is_stmt 1               ; bmm_aot.py:93:43
	;; [unrolled: 28-line block ×3, first 2 shown]
	s_and_b64 s[72:73], s[16:17], vcc
	v_mov_b32_e32 v63, 0
	v_mov_b32_e32 v64, 0
	.loc	1 99 28                         ; bmm_aot.py:99:28
	s_and_saveexec_b64 s[62:63], s[72:73]
	s_cbranch_execz .LBB0_50
; %bb.49:
	.loc	1 103 18                        ; bmm_aot.py:103:18
	v_lshl_add_u64 v[2:3], s[60:61], 1, v[14:15]
	.loc	1 99 28                         ; bmm_aot.py:99:28
	global_load_ushort v64, v[2:3], off
.LBB0_50:
	.loc	1 0 28 is_stmt 0                ; bmm_aot.py:0:28
	s_or_b64 exec, exec, s[62:63]
	.loc	1 93 43 is_stmt 1               ; bmm_aot.py:93:43
	s_and_b64 s[72:73], s[28:29], vcc
	.loc	1 99 28                         ; bmm_aot.py:99:28
	s_and_saveexec_b64 s[62:63], s[72:73]
	s_cbranch_execz .LBB0_52
; %bb.51:
	.loc	1 103 18                        ; bmm_aot.py:103:18
	v_lshl_add_u64 v[2:3], s[60:61], 1, v[16:17]
	.loc	1 99 28                         ; bmm_aot.py:99:28
	global_load_ushort v63, v[2:3], off
.LBB0_52:
	.loc	1 0 28 is_stmt 0                ; bmm_aot.py:0:28
	s_or_b64 exec, exec, s[62:63]
	v_lshlrev_b32_e32 v2, 6, v1
	v_lshlrev_b32_e32 v3, 2, v0
	v_lshrrev_b32_e32 v4, 1, v38
	v_lshl_or_b32 v2, s65, 4, v2
	v_bitop3_b32 v3, v3, v4, 48 bitop3:0x6c
	v_or_b32_e32 v4, v2, v3
	v_bitop3_b32 v2, v2, 32, v3 bitop3:0x36
	.loc	1 99 28                         ; bmm_aot.py:99:28
	v_add_u32_e32 v43, 0, v4
	.loc	1 104 27 is_stmt 1              ; bmm_aot.py:104:27
	s_lshl_b32 s14, s15, 5
	.loc	1 99 28                         ; bmm_aot.py:99:28
	s_waitcnt lgkmcnt(0)
	s_barrier
	v_add_u32_e32 v44, 0, v2
	ds_read_b128 v[54:57], v43
	ds_read_b128 v[50:53], v44
	s_ashr_i32 s15, s14, 31
	.loc	1 102 18                        ; bmm_aot.py:102:18
	s_or_b32 s13, s64, 32
	.loc	1 89 30                         ; bmm_aot.py:89:30
	s_cmp_lt_u32 s13, s10
	s_cselect_b64 s[62:63], -1, 0
	.loc	1 97 43                         ; bmm_aot.py:97:43
	s_and_b64 s[72:73], s[20:21], s[62:63]
	v_mov_b32_e32 v65, 0
	v_mov_b32_e32 v66, 0
	.loc	1 100 28                        ; bmm_aot.py:100:28
	s_and_saveexec_b64 s[62:63], s[72:73]
	s_cbranch_execz .LBB0_54
; %bb.53:
	.loc	1 104 18                        ; bmm_aot.py:104:18
	v_lshl_add_u64 v[2:3], s[14:15], 1, v[20:21]
	.loc	1 100 28                        ; bmm_aot.py:100:28
	global_load_ushort v66, v[2:3], off
.LBB0_54:
	.loc	1 0 28 is_stmt 0                ; bmm_aot.py:0:28
	s_or_b64 exec, exec, s[62:63]
	.loc	1 102 18 is_stmt 1              ; bmm_aot.py:102:18
	s_or_b32 s13, s64, 36
	.loc	1 89 30                         ; bmm_aot.py:89:30
	s_cmp_lt_u32 s13, s10
	s_cselect_b64 s[62:63], -1, 0
	.loc	1 97 43                         ; bmm_aot.py:97:43
	s_and_b64 s[72:73], s[20:21], s[62:63]
	.loc	1 100 28                        ; bmm_aot.py:100:28
	s_and_saveexec_b64 s[62:63], s[72:73]
	s_cbranch_execz .LBB0_56
; %bb.55:
	.loc	1 104 18                        ; bmm_aot.py:104:18
	v_lshl_add_u64 v[2:3], s[14:15], 1, v[22:23]
	.loc	1 100 28                        ; bmm_aot.py:100:28
	global_load_ushort v65, v[2:3], off
.LBB0_56:
	.loc	1 0 28 is_stmt 0                ; bmm_aot.py:0:28
	s_or_b64 exec, exec, s[62:63]
	.loc	1 102 18 is_stmt 1              ; bmm_aot.py:102:18
	s_or_b32 s13, s64, 40
	.loc	1 89 30                         ; bmm_aot.py:89:30
	s_cmp_lt_u32 s13, s10
	s_cselect_b64 s[62:63], -1, 0
	.loc	1 97 43                         ; bmm_aot.py:97:43
	s_and_b64 s[72:73], s[20:21], s[62:63]
	v_mov_b32_e32 v20, 0
	v_mov_b32_e32 v21, 0
	.loc	1 100 28                        ; bmm_aot.py:100:28
	s_and_saveexec_b64 s[62:63], s[72:73]
	s_cbranch_execz .LBB0_58
; %bb.57:
	.loc	1 104 18                        ; bmm_aot.py:104:18
	v_lshl_add_u64 v[2:3], s[14:15], 1, v[24:25]
	.loc	1 100 28                        ; bmm_aot.py:100:28
	global_load_ushort v21, v[2:3], off
.LBB0_58:
	.loc	1 0 28 is_stmt 0                ; bmm_aot.py:0:28
	s_or_b64 exec, exec, s[62:63]
	.loc	1 102 18 is_stmt 1              ; bmm_aot.py:102:18
	s_or_b32 s13, s64, 44
	.loc	1 89 30                         ; bmm_aot.py:89:30
	s_cmp_lt_u32 s13, s10
	s_cselect_b64 s[62:63], -1, 0
	.loc	1 97 43                         ; bmm_aot.py:97:43
	s_and_b64 s[72:73], s[20:21], s[62:63]
	.loc	1 100 28                        ; bmm_aot.py:100:28
	s_and_saveexec_b64 s[62:63], s[72:73]
	s_cbranch_execz .LBB0_60
; %bb.59:
	.loc	1 104 18                        ; bmm_aot.py:104:18
	v_lshl_add_u64 v[2:3], s[14:15], 1, v[26:27]
	.loc	1 100 28                        ; bmm_aot.py:100:28
	global_load_ushort v20, v[2:3], off
.LBB0_60:
	.loc	1 0 28 is_stmt 0                ; bmm_aot.py:0:28
	s_or_b64 exec, exec, s[62:63]
	.loc	1 102 18 is_stmt 1              ; bmm_aot.py:102:18
	;; [unrolled: 38-line block ×3, first 2 shown]
	s_or_b32 s13, s64, 56
	.loc	1 89 30                         ; bmm_aot.py:89:30
	s_cmp_lt_u32 s13, s10
	s_cselect_b64 s[62:63], -1, 0
	.loc	1 97 43                         ; bmm_aot.py:97:43
	s_and_b64 s[72:73], s[20:21], s[62:63]
	v_mov_b32_e32 v24, 0
	v_mov_b32_e32 v25, 0
	.loc	1 100 28                        ; bmm_aot.py:100:28
	s_and_saveexec_b64 s[62:63], s[72:73]
	s_cbranch_execz .LBB0_66
; %bb.65:
	.loc	1 104 18                        ; bmm_aot.py:104:18
	v_lshl_add_u64 v[2:3], s[14:15], 1, v[32:33]
	.loc	1 100 28                        ; bmm_aot.py:100:28
	global_load_ushort v25, v[2:3], off
.LBB0_66:
	.loc	1 0 28 is_stmt 0                ; bmm_aot.py:0:28
	s_or_b64 exec, exec, s[62:63]
	.loc	1 102 18 is_stmt 1              ; bmm_aot.py:102:18
	s_or_b32 s13, s64, 60
	.loc	1 89 30                         ; bmm_aot.py:89:30
	s_cmp_lt_u32 s13, s10
	s_cselect_b64 s[62:63], -1, 0
	.loc	1 97 43                         ; bmm_aot.py:97:43
	s_and_b64 s[72:73], s[20:21], s[62:63]
	.loc	1 100 28                        ; bmm_aot.py:100:28
	s_and_saveexec_b64 s[62:63], s[72:73]
	s_cbranch_execz .LBB0_68
; %bb.67:
	.loc	1 104 18                        ; bmm_aot.py:104:18
	v_lshl_add_u64 v[2:3], s[14:15], 1, v[34:35]
	.loc	1 100 28                        ; bmm_aot.py:100:28
	global_load_ushort v24, v[2:3], off
.LBB0_68:
	.loc	1 0 28 is_stmt 0                ; bmm_aot.py:0:28
	s_or_b64 exec, exec, s[62:63]
	v_and_b32_e32 v2, 0x580, v37
	v_and_b32_e32 v3, 24, v47
	;; [unrolled: 1-line block ×3, first 2 shown]
	v_bitop3_b32 v2, v2, v4, v3 bitop3:0x36
	v_xor_b32_e32 v45, s33, v2
	.loc	1 100 28                        ; bmm_aot.py:100:28
	v_add_u32_e32 v47, 0, v45
	v_xor_b32_e32 v2, 32, v45
	v_add_u32_e32 v48, 0, v2
	ds_read_b64_tr_b16 v[26:27], v47 offset:4096
	ds_read_b64_tr_b16 v[28:29], v48 offset:4608
	.loc	1 106 23 is_stmt 1              ; bmm_aot.py:106:23
	s_waitcnt lgkmcnt(0)
	v_mfma_f32_32x32x16_bf16 v[2:17], v[26:29], v[54:57], 0
	.loc	1 100 28                        ; bmm_aot.py:100:28
	ds_read_b64_tr_b16 v[30:31], v47 offset:6144
	ds_read_b64_tr_b16 v[32:33], v48 offset:6656
.Ltmp4:
	.loc	2 43 30                         ; standard.py:43:30 @[ bmm_aot.py:73:27 ]
	s_ashr_i32 s13, s69, 31
	s_lshr_b32 s13, s13, 27
	s_add_i32 s69, s69, s13
	s_ashr_i32 s13, s69, 5
.Ltmp5:
	.loc	1 78 19                         ; bmm_aot.py:78:19
	s_max_i32 s13, s13, 2
	s_mov_b32 s62, 0
	.loc	1 106 23                        ; bmm_aot.py:106:23
	s_waitcnt lgkmcnt(0)
	v_mfma_f32_32x32x16_bf16 v[2:17], v[30:33], v[50:53], v[2:17]
	v_xor_b32_e32 v46, 0x220, v45
	.loc	1 78 19                         ; bmm_aot.py:78:19
	s_cmp_eq_u32 s13, 2
	.loc	1 99 28                         ; bmm_aot.py:99:28
	s_waitcnt lgkmcnt(0)
	s_barrier
	s_waitcnt vmcnt(0)
	ds_write_b16 v39, v58
	ds_write_b16 v39, v60 offset:1024
	ds_write_b16 v39, v62 offset:2048
	;; [unrolled: 1-line block ×7, first 2 shown]
	.loc	1 100 28                        ; bmm_aot.py:100:28
	ds_write_b16 v39, v66 offset:4096
	ds_write_b16 v39, v23 offset:6144
	;; [unrolled: 1-line block ×8, first 2 shown]
	.loc	1 78 19                         ; bmm_aot.py:78:19
	s_cbranch_scc1 .LBB0_103
; %bb.69:                               ; %.peel.next
	s_lshl_b64 s[72:73], s[14:15], 2
	s_add_u32 s58, s72, s58
	s_addc_u32 s59, s73, s59
	v_lshl_or_b32 v20, s68, 6, v36
	s_lshl_b32 s63, s67, 6
	v_subrev_u32_e32 v20, s63, v20
	v_mul_lo_u32 v20, s70, v20
	s_add_u32 s4, s4, s58
	v_ashrrev_i32_e32 v21, 31, v20
	s_addc_u32 s5, s5, s59
	v_add_u32_e32 v22, s66, v36
	v_lshl_add_u64 v[20:21], v[20:21], 1, s[4:5]
	s_lshl_b64 s[4:5], s[14:15], 1
	s_lshl_b64 s[14:15], s[60:61], 2
	v_lshrrev_b32_e32 v22, 5, v22
	s_add_u32 s14, s14, s56
	v_add_u32_e32 v36, s11, v22
	s_addc_u32 s15, s15, s57
	v_add_u32_e32 v22, 56, v36
	v_add_u32_e32 v24, 48, v36
	;; [unrolled: 1-line block ×7, first 2 shown]
	v_mul_lo_u32 v22, s12, v22
	s_add_u32 s14, s2, s14
	v_mul_lo_u32 v24, s12, v24
	v_mul_lo_u32 v26, s12, v26
	;; [unrolled: 1-line block ×7, first 2 shown]
	v_ashrrev_i32_e32 v23, 31, v22
	s_addc_u32 s15, s3, s15
	v_ashrrev_i32_e32 v25, 31, v24
	v_ashrrev_i32_e32 v27, 31, v26
	;; [unrolled: 1-line block ×7, first 2 shown]
	s_lshl_b32 s12, s13, 5
	v_or_b32_e32 v49, 64, v1
	v_lshlrev_b64 v[18:19], 1, v[18:19]
	v_lshl_add_u64 v[22:23], v[22:23], 1, s[14:15]
	s_lshl_b64 s[2:3], s[60:61], 1
	v_lshl_add_u64 v[24:25], v[24:25], 1, s[14:15]
	v_lshl_add_u64 v[26:27], v[26:27], 1, s[14:15]
	;; [unrolled: 1-line block ×7, first 2 shown]
	s_sub_i32 s14, s12, 64
	s_branch .LBB0_71
.LBB0_70:                               ;   in Loop: Header=BB0_71 Depth=1
	.loc	1 0 19 is_stmt 0                ; bmm_aot.py:0:19
	s_or_b64 exec, exec, s[12:13]
	.loc	1 100 28 is_stmt 1              ; bmm_aot.py:100:28
	ds_read_b64_tr_b16 v[74:75], v47 offset:4096
	ds_read_b64_tr_b16 v[76:77], v48 offset:4608
	ds_read_b64_tr_b16 v[78:79], v47 offset:6144
	ds_read_b64_tr_b16 v[80:81], v48 offset:6656
	.loc	1 78 19                         ; bmm_aot.py:78:19
	s_add_i32 s62, s62, 32
	v_lshl_add_u64 v[20:21], v[20:21], 0, s[4:5]
	.loc	1 106 23                        ; bmm_aot.py:106:23
	s_waitcnt lgkmcnt(2)
	v_mfma_f32_32x32x16_bf16 v[2:17], v[74:77], v[54:57], v[2:17]
	.loc	1 78 19                         ; bmm_aot.py:78:19
	v_lshl_add_u64 v[22:23], v[22:23], 0, s[2:3]
	v_lshl_add_u64 v[24:25], v[24:25], 0, s[2:3]
	;; [unrolled: 1-line block ×7, first 2 shown]
	.loc	1 106 23                        ; bmm_aot.py:106:23
	s_waitcnt lgkmcnt(0)
	v_mfma_f32_32x32x16_bf16 v[2:17], v[78:81], v[50:53], v[2:17]
	.loc	1 78 19                         ; bmm_aot.py:78:19
	s_cmp_lg_u32 s14, s62
	v_lshl_add_u64 v[36:37], v[36:37], 0, s[2:3]
	.loc	1 99 28                         ; bmm_aot.py:99:28
	s_waitcnt lgkmcnt(0)
	s_barrier
	s_waitcnt vmcnt(0)
	ds_write_b16 v39, v59
	ds_write_b16 v39, v61 offset:1024
	ds_write_b16 v39, v63 offset:2048
	;; [unrolled: 1-line block ×7, first 2 shown]
	.loc	1 100 28                        ; bmm_aot.py:100:28
	ds_write_b16 v39, v67 offset:4096
	ds_write_b16 v39, v71 offset:6144
	;; [unrolled: 1-line block ×8, first 2 shown]
	.loc	1 78 19                         ; bmm_aot.py:78:19
	s_cbranch_scc0 .LBB0_103
.LBB0_71:                               ; =>This Inner Loop Header: Depth=1
	.loc	1 102 18                        ; bmm_aot.py:102:18
	v_add_u32_e32 v50, s62, v49
	.loc	1 89 30                         ; bmm_aot.py:89:30
	v_cmp_gt_i32_e32 vcc, s10, v50
	.loc	1 93 43                         ; bmm_aot.py:93:43
	s_and_b64 s[56:57], s[22:23], vcc
	v_mov_b32_e32 v58, 0
	v_mov_b32_e32 v59, 0
	.loc	1 99 28                         ; bmm_aot.py:99:28
	s_and_saveexec_b64 s[12:13], s[56:57]
	s_cbranch_execz .LBB0_73
; %bb.72:                               ;   in Loop: Header=BB0_71 Depth=1
	.loc	1 103 18                        ; bmm_aot.py:103:18
	v_lshl_add_u64 v[50:51], v[36:37], 0, v[18:19]
	.loc	1 99 28                         ; bmm_aot.py:99:28
	global_load_ushort v59, v[50:51], off
.LBB0_73:                               ;   in Loop: Header=BB0_71 Depth=1
	.loc	1 0 28 is_stmt 0                ; bmm_aot.py:0:28
	s_or_b64 exec, exec, s[12:13]
	.loc	1 93 43 is_stmt 1               ; bmm_aot.py:93:43
	s_and_b64 s[56:57], s[24:25], vcc
	.loc	1 99 28                         ; bmm_aot.py:99:28
	s_and_saveexec_b64 s[12:13], s[56:57]
	s_cbranch_execz .LBB0_75
; %bb.74:                               ;   in Loop: Header=BB0_71 Depth=1
	.loc	1 103 18                        ; bmm_aot.py:103:18
	v_lshl_add_u64 v[50:51], v[34:35], 0, v[18:19]
	.loc	1 99 28                         ; bmm_aot.py:99:28
	global_load_ushort v58, v[50:51], off
.LBB0_75:                               ;   in Loop: Header=BB0_71 Depth=1
	.loc	1 0 28 is_stmt 0                ; bmm_aot.py:0:28
	s_or_b64 exec, exec, s[12:13]
	.loc	1 93 43 is_stmt 1               ; bmm_aot.py:93:43
	s_and_b64 s[56:57], s[26:27], vcc
	v_mov_b32_e32 v60, 0
	v_mov_b32_e32 v61, 0
	.loc	1 99 28                         ; bmm_aot.py:99:28
	s_and_saveexec_b64 s[12:13], s[56:57]
	s_cbranch_execz .LBB0_77
; %bb.76:                               ;   in Loop: Header=BB0_71 Depth=1
	.loc	1 103 18                        ; bmm_aot.py:103:18
	v_lshl_add_u64 v[50:51], v[32:33], 0, v[18:19]
	.loc	1 99 28                         ; bmm_aot.py:99:28
	global_load_ushort v61, v[50:51], off
.LBB0_77:                               ;   in Loop: Header=BB0_71 Depth=1
	.loc	1 0 28 is_stmt 0                ; bmm_aot.py:0:28
	s_or_b64 exec, exec, s[12:13]
	.loc	1 93 43 is_stmt 1               ; bmm_aot.py:93:43
	s_and_b64 s[56:57], s[30:31], vcc
	.loc	1 99 28                         ; bmm_aot.py:99:28
	s_and_saveexec_b64 s[12:13], s[56:57]
	s_cbranch_execz .LBB0_79
; %bb.78:                               ;   in Loop: Header=BB0_71 Depth=1
	.loc	1 103 18                        ; bmm_aot.py:103:18
	v_lshl_add_u64 v[50:51], v[30:31], 0, v[18:19]
	.loc	1 99 28                         ; bmm_aot.py:99:28
	global_load_ushort v60, v[50:51], off
.LBB0_79:                               ;   in Loop: Header=BB0_71 Depth=1
	.loc	1 0 28 is_stmt 0                ; bmm_aot.py:0:28
	s_or_b64 exec, exec, s[12:13]
	.loc	1 93 43 is_stmt 1               ; bmm_aot.py:93:43
	;; [unrolled: 28-line block ×3, first 2 shown]
	s_and_b64 s[56:57], s[16:17], vcc
	v_mov_b32_e32 v64, 0
	v_mov_b32_e32 v65, 0
	.loc	1 99 28                         ; bmm_aot.py:99:28
	s_and_saveexec_b64 s[12:13], s[56:57]
	s_cbranch_execz .LBB0_85
; %bb.84:                               ;   in Loop: Header=BB0_71 Depth=1
	.loc	1 103 18                        ; bmm_aot.py:103:18
	v_lshl_add_u64 v[50:51], v[24:25], 0, v[18:19]
	.loc	1 99 28                         ; bmm_aot.py:99:28
	global_load_ushort v65, v[50:51], off
.LBB0_85:                               ;   in Loop: Header=BB0_71 Depth=1
	.loc	1 0 28 is_stmt 0                ; bmm_aot.py:0:28
	s_or_b64 exec, exec, s[12:13]
	.loc	1 93 43 is_stmt 1               ; bmm_aot.py:93:43
	s_and_b64 s[56:57], s[28:29], vcc
	.loc	1 99 28                         ; bmm_aot.py:99:28
	s_and_saveexec_b64 s[12:13], s[56:57]
	s_cbranch_execz .LBB0_87
; %bb.86:                               ;   in Loop: Header=BB0_71 Depth=1
	.loc	1 104 18                        ; bmm_aot.py:104:18
	v_lshl_add_u64 v[50:51], v[22:23], 0, v[18:19]
	.loc	1 99 28                         ; bmm_aot.py:99:28
	global_load_ushort v64, v[50:51], off
.LBB0_87:                               ;   in Loop: Header=BB0_71 Depth=1
	.loc	1 0 28 is_stmt 0                ; bmm_aot.py:0:28
	s_or_b64 exec, exec, s[12:13]
	.loc	1 102 18 is_stmt 1              ; bmm_aot.py:102:18
	s_add_i32 s15, s64, s62
	.loc	1 99 28                         ; bmm_aot.py:99:28
	s_waitcnt lgkmcnt(0)
	s_barrier
	ds_read_b128 v[54:57], v43
	ds_read_b128 v[50:53], v44
	.loc	1 102 18                        ; bmm_aot.py:102:18
	s_add_i32 s12, s15, 64
	.loc	1 89 30                         ; bmm_aot.py:89:30
	s_cmp_lt_i32 s12, s10
	s_cselect_b64 s[12:13], -1, 0
	.loc	1 97 43                         ; bmm_aot.py:97:43
	s_and_b64 s[56:57], s[20:21], s[12:13]
	v_mov_b32_e32 v66, 0
	v_mov_b32_e32 v67, 0
	.loc	1 100 28                        ; bmm_aot.py:100:28
	s_and_saveexec_b64 s[12:13], s[56:57]
	s_cbranch_execz .LBB0_89
; %bb.88:                               ;   in Loop: Header=BB0_71 Depth=1
	.loc	1 104 18                        ; bmm_aot.py:104:18
	v_lshl_add_u64 v[68:69], v[20:21], 0, s[40:41]
	.loc	1 100 28                        ; bmm_aot.py:100:28
	global_load_ushort v67, v[68:69], off
.LBB0_89:                               ;   in Loop: Header=BB0_71 Depth=1
	.loc	1 0 28 is_stmt 0                ; bmm_aot.py:0:28
	s_or_b64 exec, exec, s[12:13]
	.loc	1 102 18 is_stmt 1              ; bmm_aot.py:102:18
	s_add_i32 s12, s15, 0x44
	.loc	1 89 30                         ; bmm_aot.py:89:30
	s_cmp_lt_i32 s12, s10
	s_cselect_b64 s[12:13], -1, 0
	.loc	1 97 43                         ; bmm_aot.py:97:43
	s_and_b64 s[56:57], s[20:21], s[12:13]
	.loc	1 100 28                        ; bmm_aot.py:100:28
	s_and_saveexec_b64 s[12:13], s[56:57]
	s_cbranch_execz .LBB0_91
; %bb.90:                               ;   in Loop: Header=BB0_71 Depth=1
	.loc	1 104 18                        ; bmm_aot.py:104:18
	v_lshl_add_u64 v[68:69], v[20:21], 0, s[42:43]
	.loc	1 100 28                        ; bmm_aot.py:100:28
	global_load_ushort v66, v[68:69], off
.LBB0_91:                               ;   in Loop: Header=BB0_71 Depth=1
	.loc	1 0 28 is_stmt 0                ; bmm_aot.py:0:28
	s_or_b64 exec, exec, s[12:13]
	.loc	1 102 18 is_stmt 1              ; bmm_aot.py:102:18
	s_add_i32 s12, s15, 0x48
	.loc	1 89 30                         ; bmm_aot.py:89:30
	s_cmp_lt_i32 s12, s10
	s_cselect_b64 s[12:13], -1, 0
	.loc	1 97 43                         ; bmm_aot.py:97:43
	s_and_b64 s[56:57], s[20:21], s[12:13]
	v_mov_b32_e32 v68, 0
	v_mov_b32_e32 v69, 0
	.loc	1 100 28                        ; bmm_aot.py:100:28
	s_and_saveexec_b64 s[12:13], s[56:57]
	s_cbranch_execz .LBB0_93
; %bb.92:                               ;   in Loop: Header=BB0_71 Depth=1
	.loc	1 104 18                        ; bmm_aot.py:104:18
	v_lshl_add_u64 v[70:71], v[20:21], 0, s[44:45]
	.loc	1 100 28                        ; bmm_aot.py:100:28
	global_load_ushort v69, v[70:71], off
.LBB0_93:                               ;   in Loop: Header=BB0_71 Depth=1
	.loc	1 0 28 is_stmt 0                ; bmm_aot.py:0:28
	s_or_b64 exec, exec, s[12:13]
	.loc	1 102 18 is_stmt 1              ; bmm_aot.py:102:18
	s_add_i32 s12, s15, 0x4c
	.loc	1 89 30                         ; bmm_aot.py:89:30
	s_cmp_lt_i32 s12, s10
	s_cselect_b64 s[12:13], -1, 0
	.loc	1 97 43                         ; bmm_aot.py:97:43
	s_and_b64 s[56:57], s[20:21], s[12:13]
	.loc	1 100 28                        ; bmm_aot.py:100:28
	s_and_saveexec_b64 s[12:13], s[56:57]
	s_cbranch_execz .LBB0_95
; %bb.94:                               ;   in Loop: Header=BB0_71 Depth=1
	.loc	1 104 18                        ; bmm_aot.py:104:18
	v_lshl_add_u64 v[70:71], v[20:21], 0, s[46:47]
	.loc	1 100 28                        ; bmm_aot.py:100:28
	global_load_ushort v68, v[70:71], off
.LBB0_95:                               ;   in Loop: Header=BB0_71 Depth=1
	.loc	1 0 28 is_stmt 0                ; bmm_aot.py:0:28
	s_or_b64 exec, exec, s[12:13]
	.loc	1 102 18 is_stmt 1              ; bmm_aot.py:102:18
	;; [unrolled: 38-line block ×3, first 2 shown]
	s_add_i32 s12, s15, 0x58
	.loc	1 89 30                         ; bmm_aot.py:89:30
	s_cmp_lt_i32 s12, s10
	s_cselect_b64 s[12:13], -1, 0
	.loc	1 97 43                         ; bmm_aot.py:97:43
	s_and_b64 s[56:57], s[20:21], s[12:13]
	v_mov_b32_e32 v72, 0
	v_mov_b32_e32 v73, 0
	.loc	1 100 28                        ; bmm_aot.py:100:28
	s_and_saveexec_b64 s[12:13], s[56:57]
	s_cbranch_execz .LBB0_101
; %bb.100:                              ;   in Loop: Header=BB0_71 Depth=1
	.loc	1 104 18                        ; bmm_aot.py:104:18
	v_lshl_add_u64 v[74:75], v[20:21], 0, s[52:53]
	.loc	1 100 28                        ; bmm_aot.py:100:28
	global_load_ushort v73, v[74:75], off
.LBB0_101:                              ;   in Loop: Header=BB0_71 Depth=1
	.loc	1 0 28 is_stmt 0                ; bmm_aot.py:0:28
	s_or_b64 exec, exec, s[12:13]
	.loc	1 103 18 is_stmt 1              ; bmm_aot.py:103:18
	s_addk_i32 s15, 0x5c
	.loc	1 89 30                         ; bmm_aot.py:89:30
	s_cmp_lt_i32 s15, s10
	s_cselect_b64 s[12:13], -1, 0
	.loc	1 97 43                         ; bmm_aot.py:97:43
	s_and_b64 s[56:57], s[20:21], s[12:13]
	.loc	1 100 28                        ; bmm_aot.py:100:28
	s_and_saveexec_b64 s[12:13], s[56:57]
	s_cbranch_execz .LBB0_70
; %bb.102:                              ;   in Loop: Header=BB0_71 Depth=1
	.loc	1 89 30                         ; bmm_aot.py:89:30
	v_lshl_add_u64 v[74:75], v[20:21], 0, s[54:55]
	.loc	1 100 28                        ; bmm_aot.py:100:28
	global_load_ushort v72, v[74:75], off
	s_branch .LBB0_70
.LBB0_103:                              ; %Flow135
	.loc	1 100 28                        ; bmm_aot.py:100:28
	v_add_u32_e32 v18, 0, v45
	v_add_u32_e32 v20, 0, v46
	.loc	1 99 28                         ; bmm_aot.py:99:28
	s_waitcnt lgkmcnt(0)
	s_barrier
	.loc	1 100 28                        ; bmm_aot.py:100:28
	ds_read_b64_tr_b16 v[22:23], v18 offset:4096
	ds_read_b64_tr_b16 v[18:19], v18 offset:6144
	;; [unrolled: 1-line block ×4, first 2 shown]
	s_load_dwordx2 s[2:3], s[0:1], 0x3c
	s_load_dword s4, s[0:1], 0x44
	.loc	1 106 23                        ; bmm_aot.py:106:23
	s_andn2_b64 vcc, exec, s[38:39]
	s_cbranch_vccnz .LBB0_105
; %bb.104:
	.loc	1 99 28                         ; bmm_aot.py:99:28
	v_lshlrev_b32_e32 v0, 2, v0
	v_lshrrev_b32_e32 v27, 1, v38
	v_lshlrev_b32_e32 v26, 6, v1
	s_lshl_b32 s0, s65, 4
	v_bitop3_b32 v0, v0, v27, 48 bitop3:0x6c
	v_or3_b32 v0, s0, v26, v0
	v_add_u32_e32 v26, 0, v0
	ds_read_b128 v[26:29], v26
	v_xad_u32 v0, v0, 32, 0
	.loc	1 106 23                        ; bmm_aot.py:106:23
	s_waitcnt lgkmcnt(0)
	v_mfma_f32_32x32x16_bf16 v[2:17], v[22:25], v[26:29], v[2:17]
	.loc	1 99 28                         ; bmm_aot.py:99:28
	ds_read_b128 v[22:25], v0
	.loc	1 106 23                        ; bmm_aot.py:106:23
	s_waitcnt lgkmcnt(0)
	v_mfma_f32_32x32x16_bf16 v[2:17], v[18:21], v[22:25], v[2:17]
.LBB0_105:                              ; %._crit_edge._crit_edge
	.loc	1 37 17                         ; bmm_aot.py:37:17
	s_waitcnt lgkmcnt(0)
	s_mul_i32 s0, s2, s18
	.loc	1 37 9 is_stmt 0                ; bmm_aot.py:37:9
	s_ashr_i32 s1, s0, 31
	s_lshl_b64 s[0:1], s[0:1], 1
	s_add_u32 s0, s6, s0
	s_addc_u32 s1, s7, s1
	.loc	1 60 43 is_stmt 1               ; bmm_aot.py:60:43
	s_lshr_b32 s2, s65, 2
	v_or_b32_e32 v0, s2, v1
	v_lshrrev_b32_e32 v1, 2, v38
	s_lshr_b32 s2, s33, 1
	.loc	1 60 30 is_stmt 0               ; bmm_aot.py:60:30
	v_or_b32_e32 v19, s11, v0
	.loc	1 60 43                         ; bmm_aot.py:60:43
	v_or_b32_e32 v1, s2, v1
	.loc	1 71 35 is_stmt 1               ; bmm_aot.py:71:35
	v_mul_lo_u32 v0, v19, s3
	.loc	1 61 30                         ; bmm_aot.py:61:30
	v_or_b32_e32 v18, s19, v1
	.loc	1 71 17                         ; bmm_aot.py:71:17
	v_ashrrev_i32_e32 v1, 31, v0
	v_lshl_add_u64 v[0:1], v[0:1], 1, s[0:1]
	.loc	1 65 26                         ; bmm_aot.py:65:26
	v_cmp_gt_i32_e32 vcc, s8, v19
	.loc	1 67 26                         ; bmm_aot.py:67:26
	v_cmp_gt_i32_e64 s[0:1], s9, v18
	.loc	1 116 24                        ; bmm_aot.py:116:24
	v_cvt_pk_bf16_f32 v20, v2, v3
	v_cvt_pk_bf16_f32 v19, v4, v5
	v_cvt_pk_bf16_f32 v7, v6, v7
	v_cvt_pk_bf16_f32 v6, v8, v9
	v_cvt_pk_bf16_f32 v5, v10, v11
	v_cvt_pk_bf16_f32 v4, v12, v13
	v_cvt_pk_bf16_f32 v3, v14, v15
	v_cvt_pk_bf16_f32 v2, v16, v17
	.loc	1 115 35                        ; bmm_aot.py:115:35
	s_and_b64 s[2:3], vcc, s[0:1]
	.loc	1 116 24                        ; bmm_aot.py:116:24
	v_permlane32_swap_b32_e32 v20, v7
	v_permlane32_swap_b32_e32 v19, v6
	;; [unrolled: 1-line block ×4, first 2 shown]
	s_and_saveexec_b64 s[0:1], s[2:3]
	s_cbranch_execz .LBB0_107
; %bb.106:
	.loc	1 71 65                         ; bmm_aot.py:71:65
	v_mul_lo_u32 v8, v18, s4
	.loc	1 71 47 is_stmt 0               ; bmm_aot.py:71:47
	v_ashrrev_i32_e32 v9, 31, v8
	v_lshl_add_u64 v[8:9], v[8:9], 1, v[0:1]
	.loc	1 116 24 is_stmt 1              ; bmm_aot.py:116:24
	global_store_short v[8:9], v20, off
.LBB0_107:
	.loc	1 0 24 is_stmt 0                ; bmm_aot.py:0:24
	s_or_b64 exec, exec, s[0:1]
	.loc	1 61 30 is_stmt 1               ; bmm_aot.py:61:30
	v_or_b32_e32 v8, 1, v18
	.loc	1 67 26                         ; bmm_aot.py:67:26
	v_cmp_gt_i32_e64 s[0:1], s9, v8
	.loc	1 115 35                        ; bmm_aot.py:115:35
	s_and_b64 s[2:3], s[0:1], vcc
	.loc	1 116 24                        ; bmm_aot.py:116:24
	s_and_saveexec_b64 s[0:1], s[2:3]
	s_cbranch_execz .LBB0_109
; %bb.108:
	.loc	1 71 65                         ; bmm_aot.py:71:65
	v_mul_lo_u32 v8, v8, s4
	.loc	1 71 47 is_stmt 0               ; bmm_aot.py:71:47
	v_ashrrev_i32_e32 v9, 31, v8
	v_lshl_add_u64 v[8:9], v[8:9], 1, v[0:1]
	.loc	1 116 24 is_stmt 1              ; bmm_aot.py:116:24
	global_store_short_d16_hi v[8:9], v20, off
.LBB0_109:
	.loc	1 0 24 is_stmt 0                ; bmm_aot.py:0:24
	s_or_b64 exec, exec, s[0:1]
	.loc	1 61 30 is_stmt 1               ; bmm_aot.py:61:30
	v_or_b32_e32 v8, 2, v18
	.loc	1 67 26                         ; bmm_aot.py:67:26
	v_cmp_gt_i32_e64 s[0:1], s9, v8
	.loc	1 115 35                        ; bmm_aot.py:115:35
	s_and_b64 s[2:3], s[0:1], vcc
	.loc	1 116 24                        ; bmm_aot.py:116:24
	s_and_saveexec_b64 s[0:1], s[2:3]
	s_cbranch_execz .LBB0_111
; %bb.110:
	.loc	1 71 65                         ; bmm_aot.py:71:65
	v_mul_lo_u32 v8, v8, s4
	.loc	1 71 47 is_stmt 0               ; bmm_aot.py:71:47
	v_ashrrev_i32_e32 v9, 31, v8
	v_lshl_add_u64 v[8:9], v[8:9], 1, v[0:1]
	.loc	1 116 24 is_stmt 1              ; bmm_aot.py:116:24
	global_store_short v[8:9], v19, off
.LBB0_111:
	.loc	1 0 24 is_stmt 0                ; bmm_aot.py:0:24
	s_or_b64 exec, exec, s[0:1]
	.loc	1 61 30 is_stmt 1               ; bmm_aot.py:61:30
	v_or_b32_e32 v8, 3, v18
	.loc	1 67 26                         ; bmm_aot.py:67:26
	v_cmp_gt_i32_e64 s[0:1], s9, v8
	.loc	1 115 35                        ; bmm_aot.py:115:35
	s_and_b64 s[2:3], s[0:1], vcc
	.loc	1 116 24                        ; bmm_aot.py:116:24
	s_and_saveexec_b64 s[0:1], s[2:3]
	s_cbranch_execz .LBB0_113
; %bb.112:
	.loc	1 71 65                         ; bmm_aot.py:71:65
	v_mul_lo_u32 v8, v8, s4
	.loc	1 71 47 is_stmt 0               ; bmm_aot.py:71:47
	v_ashrrev_i32_e32 v9, 31, v8
	v_lshl_add_u64 v[8:9], v[8:9], 1, v[0:1]
	.loc	1 116 24 is_stmt 1              ; bmm_aot.py:116:24
	global_store_short_d16_hi v[8:9], v19, off
.LBB0_113:
	.loc	1 0 24 is_stmt 0                ; bmm_aot.py:0:24
	s_or_b64 exec, exec, s[0:1]
	.loc	1 61 30 is_stmt 1               ; bmm_aot.py:61:30
	v_or_b32_e32 v8, 4, v18
	.loc	1 67 26                         ; bmm_aot.py:67:26
	v_cmp_gt_i32_e64 s[0:1], s9, v8
	.loc	1 115 35                        ; bmm_aot.py:115:35
	s_and_b64 s[2:3], s[0:1], vcc
	.loc	1 116 24                        ; bmm_aot.py:116:24
	;; [unrolled: 40-line block ×7, first 2 shown]
	s_and_saveexec_b64 s[0:1], s[2:3]
	s_cbranch_execz .LBB0_135
; %bb.134:
	.loc	1 71 65                         ; bmm_aot.py:71:65
	v_mul_lo_u32 v4, v3, s4
	.loc	1 71 47 is_stmt 0               ; bmm_aot.py:71:47
	v_ashrrev_i32_e32 v5, 31, v4
	v_lshl_add_u64 v[4:5], v[4:5], 1, v[0:1]
	.loc	1 116 24 is_stmt 1              ; bmm_aot.py:116:24
	global_store_short v[4:5], v2, off
.LBB0_135:
	.loc	1 0 24 is_stmt 0                ; bmm_aot.py:0:24
	s_or_b64 exec, exec, s[0:1]
	.loc	1 61 30 is_stmt 1               ; bmm_aot.py:61:30
	v_or_b32_e32 v3, 23, v18
	.loc	1 67 26                         ; bmm_aot.py:67:26
	v_cmp_gt_i32_e64 s[0:1], s9, v3
	.loc	1 115 35                        ; bmm_aot.py:115:35
	s_and_b64 s[0:1], s[0:1], vcc
	.loc	1 116 24                        ; bmm_aot.py:116:24
	s_and_saveexec_b64 s[2:3], s[0:1]
	s_cbranch_execz .LBB0_137
; %bb.136:
	.loc	1 71 65                         ; bmm_aot.py:71:65
	v_mul_lo_u32 v4, v3, s4
	.loc	1 71 47 is_stmt 0               ; bmm_aot.py:71:47
	v_ashrrev_i32_e32 v5, 31, v4
	v_lshl_add_u64 v[0:1], v[4:5], 1, v[0:1]
	.loc	1 116 24 is_stmt 1              ; bmm_aot.py:116:24
	global_store_short_d16_hi v[0:1], v2, off
.LBB0_137:
	.loc	1 116 4 is_stmt 0               ; bmm_aot.py:116:4
	s_endpgm
.Ltmp6:
	.section	.rodata,"a",@progbits
	.p2align	6, 0x0
	.amdhsa_kernel bmm_kernel
		.amdhsa_group_segment_fixed_size 0
		.amdhsa_private_segment_fixed_size 0
		.amdhsa_kernarg_size 344
		.amdhsa_user_sgpr_count 16
		.amdhsa_user_sgpr_dispatch_ptr 0
		.amdhsa_user_sgpr_queue_ptr 0
		.amdhsa_user_sgpr_kernarg_segment_ptr 1
		.amdhsa_user_sgpr_dispatch_id 0
		.amdhsa_user_sgpr_kernarg_preload_length 14
		.amdhsa_user_sgpr_kernarg_preload_offset 0
		.amdhsa_user_sgpr_private_segment_size 0
		.amdhsa_uses_dynamic_stack 0
		.amdhsa_enable_private_segment 0
		.amdhsa_system_sgpr_workgroup_id_x 1
		.amdhsa_system_sgpr_workgroup_id_y 1
		.amdhsa_system_sgpr_workgroup_id_z 1
		.amdhsa_system_sgpr_workgroup_info 0
		.amdhsa_system_vgpr_workitem_id 0
		.amdhsa_next_free_vgpr 82
		.amdhsa_next_free_sgpr 74
		.amdhsa_accum_offset 84
		.amdhsa_reserve_vcc 1
		.amdhsa_reserve_xnack_mask 1
		.amdhsa_float_round_mode_32 0
		.amdhsa_float_round_mode_16_64 0
		.amdhsa_float_denorm_mode_32 3
		.amdhsa_float_denorm_mode_16_64 3
		.amdhsa_dx10_clamp 1
		.amdhsa_ieee_mode 1
		.amdhsa_fp16_overflow 0
		.amdhsa_tg_split 0
		.amdhsa_exception_fp_ieee_invalid_op 0
		.amdhsa_exception_fp_denorm_src 0
		.amdhsa_exception_fp_ieee_div_zero 0
		.amdhsa_exception_fp_ieee_overflow 0
		.amdhsa_exception_fp_ieee_underflow 0
		.amdhsa_exception_fp_ieee_inexact 0
		.amdhsa_exception_int_div_zero 0
	.end_amdhsa_kernel
	.text
.Lfunc_end0:
	.size	bmm_kernel, .Lfunc_end0-bmm_kernel
	.cfi_endproc
                                        ; -- End function
	.set bmm_kernel.num_vgpr, 82
	.set bmm_kernel.num_agpr, 0
	.set bmm_kernel.numbered_sgpr, 74
	.set bmm_kernel.num_named_barrier, 0
	.set bmm_kernel.private_seg_size, 0
	.set bmm_kernel.uses_vcc, 1
	.set bmm_kernel.uses_flat_scratch, 0
	.set bmm_kernel.has_dyn_sized_stack, 0
	.set bmm_kernel.has_recursion, 0
	.set bmm_kernel.has_indirect_call, 0
	.section	.AMDGPU.csdata,"",@progbits
; Kernel info:
; codeLenInByte = 5800
; TotalNumSgprs: 80
; NumVgprs: 82
; NumAgprs: 0
; TotalNumVgprs: 82
; ScratchSize: 0
; MemoryBound: 0
; FloatMode: 240
; IeeeMode: 1
; LDSByteSize: 0 bytes/workgroup (compile time only)
; SGPRBlocks: 9
; VGPRBlocks: 10
; NumSGPRsForWavesPerEU: 80
; NumVGPRsForWavesPerEU: 82
; AccumOffset: 84
; Occupancy: 5
; WaveLimiterHint : 0
; COMPUTE_PGM_RSRC2:SCRATCH_EN: 0
; COMPUTE_PGM_RSRC2:USER_SGPR: 16
; COMPUTE_PGM_RSRC2:TRAP_HANDLER: 0
; COMPUTE_PGM_RSRC2:TGID_X_EN: 1
; COMPUTE_PGM_RSRC2:TGID_Y_EN: 1
; COMPUTE_PGM_RSRC2:TGID_Z_EN: 1
; COMPUTE_PGM_RSRC2:TIDIG_COMP_CNT: 0
; COMPUTE_PGM_RSRC3_GFX90A:ACCUM_OFFSET: 20
; COMPUTE_PGM_RSRC3_GFX90A:TG_SPLIT: 0
	.text
	.p2alignl 6, 3212836864
	.fill 256, 4, 3212836864
	.section	.AMDGPU.gpr_maximums,"",@progbits
	.set amdgpu.max_num_vgpr, 0
	.set amdgpu.max_num_agpr, 0
	.set amdgpu.max_num_sgpr, 0
	.set amdgpu.max_num_named_barrier, 0
	.text
	.section	.debug_abbrev,"",@progbits
	.byte	1                               ; Abbreviation Code
	.byte	17                              ; DW_TAG_compile_unit
	.byte	1                               ; DW_CHILDREN_yes
	.byte	37                              ; DW_AT_producer
	.byte	14                              ; DW_FORM_strp
	.byte	19                              ; DW_AT_language
	.byte	5                               ; DW_FORM_data2
	.byte	3                               ; DW_AT_name
	.byte	14                              ; DW_FORM_strp
	.byte	16                              ; DW_AT_stmt_list
	.byte	23                              ; DW_FORM_sec_offset
	.byte	27                              ; DW_AT_comp_dir
	.byte	14                              ; DW_FORM_strp
	.byte	17                              ; DW_AT_low_pc
	.byte	1                               ; DW_FORM_addr
	.byte	18                              ; DW_AT_high_pc
	.byte	6                               ; DW_FORM_data4
	.byte	0                               ; EOM(1)
	.byte	0                               ; EOM(2)
	.byte	2                               ; Abbreviation Code
	.byte	46                              ; DW_TAG_subprogram
	.byte	0                               ; DW_CHILDREN_no
	.byte	3                               ; DW_AT_name
	.byte	14                              ; DW_FORM_strp
	.byte	32                              ; DW_AT_inline
	.byte	11                              ; DW_FORM_data1
	.byte	0                               ; EOM(1)
	.byte	0                               ; EOM(2)
	.byte	3                               ; Abbreviation Code
	.byte	46                              ; DW_TAG_subprogram
	.byte	1                               ; DW_CHILDREN_yes
	.byte	17                              ; DW_AT_low_pc
	.byte	1                               ; DW_FORM_addr
	.byte	18                              ; DW_AT_high_pc
	.byte	6                               ; DW_FORM_data4
	.byte	49                              ; DW_AT_abstract_origin
	.byte	19                              ; DW_FORM_ref4
	.byte	0                               ; EOM(1)
	.byte	0                               ; EOM(2)
	.byte	4                               ; Abbreviation Code
	.byte	29                              ; DW_TAG_inlined_subroutine
	.byte	0                               ; DW_CHILDREN_no
	.byte	49                              ; DW_AT_abstract_origin
	.byte	19                              ; DW_FORM_ref4
	.byte	85                              ; DW_AT_ranges
	.byte	23                              ; DW_FORM_sec_offset
	.byte	88                              ; DW_AT_call_file
	.byte	11                              ; DW_FORM_data1
	.byte	89                              ; DW_AT_call_line
	.byte	11                              ; DW_FORM_data1
	.byte	87                              ; DW_AT_call_column
	.byte	11                              ; DW_FORM_data1
	.byte	0                               ; EOM(1)
	.byte	0                               ; EOM(2)
	;; [unrolled: 1-line block ×3, first 2 shown]
	.section	.debug_info,"",@progbits
.Lcu_begin0:
	.long	.Ldebug_info_end0-.Ldebug_info_start0 ; Length of Unit
.Ldebug_info_start0:
	.short	4                               ; DWARF version number
	.long	.debug_abbrev                   ; Offset Into Abbrev. Section
	.byte	8                               ; Address Size (in bytes)
	.byte	1                               ; Abbrev [1] 0xb:0x44 DW_TAG_compile_unit
	.long	.Linfo_string0                  ; DW_AT_producer
	.short	2                               ; DW_AT_language
	.long	.Linfo_string1                  ; DW_AT_name
	.long	.Lline_table_start0             ; DW_AT_stmt_list
	.long	.Linfo_string2                  ; DW_AT_comp_dir
	.quad	.Lfunc_begin0                   ; DW_AT_low_pc
	.long	.Lfunc_end0-.Lfunc_begin0       ; DW_AT_high_pc
	.byte	2                               ; Abbrev [2] 0x2a:0x6 DW_TAG_subprogram
	.long	.Linfo_string3                  ; DW_AT_name
	.byte	1                               ; DW_AT_inline
	.byte	3                               ; Abbrev [3] 0x30:0x1e DW_TAG_subprogram
	.quad	.Lfunc_begin0                   ; DW_AT_low_pc
	.long	.Lfunc_end0-.Lfunc_begin0       ; DW_AT_high_pc
	.long	42                              ; DW_AT_abstract_origin
	.byte	4                               ; Abbrev [4] 0x41:0xc DW_TAG_inlined_subroutine
	.long	42                              ; DW_AT_abstract_origin
	.long	.Ldebug_ranges0                 ; DW_AT_ranges
	.byte	1                               ; DW_AT_call_file
	.byte	73                              ; DW_AT_call_line
	.byte	27                              ; DW_AT_call_column
	.byte	0                               ; End Of Children Mark
	.byte	0                               ; End Of Children Mark
.Ldebug_info_end0:
	.section	.debug_ranges,"",@progbits
.Ldebug_ranges0:
	.quad	.Ltmp2-.Lfunc_begin0
	.quad	.Ltmp3-.Lfunc_begin0
	.quad	.Ltmp4-.Lfunc_begin0
	.quad	.Ltmp5-.Lfunc_begin0
	.quad	0
	.quad	0
	.section	.debug_str,"MS",@progbits,1
.Linfo_string0:
	.asciz	"triton"                        ; string offset=0
.Linfo_string1:
	.asciz	"bmm_aot.py"                    ; string offset=7
.Linfo_string2:
	.asciz	"/root/src/amdgpu-assembly/repos/FlagOpen__FlagGems/triton_aot_kernels" ; string offset=18
.Linfo_string3:
	.asciz	"bmm_kernel"                    ; string offset=88
	.section	".note.GNU-stack","",@progbits
	.amdgpu_metadata
---
amdhsa.kernels:
  - .agpr_count:     0
    .args:
      - .address_space:  global
        .offset:         0
        .size:           8
        .value_kind:     global_buffer
      - .address_space:  global
        .offset:         8
        .size:           8
        .value_kind:     global_buffer
      - .address_space:  global
        .offset:         16
        .size:           8
        .value_kind:     global_buffer
      - .offset:         24
        .size:           4
        .value_kind:     by_value
      - .offset:         28
        .size:           4
        .value_kind:     by_value
      - .offset:         32
        .size:           4
        .value_kind:     by_value
      - .offset:         36
        .size:           4
        .value_kind:     by_value
      - .offset:         40
        .size:           4
        .value_kind:     by_value
      - .offset:         44
        .size:           4
        .value_kind:     by_value
      - .offset:         48
        .size:           4
        .value_kind:     by_value
      - .offset:         52
        .size:           4
        .value_kind:     by_value
      - .offset:         56
        .size:           4
        .value_kind:     by_value
      - .offset:         60
        .size:           4
        .value_kind:     by_value
      - .offset:         64
        .size:           4
        .value_kind:     by_value
      - .offset:         68
        .size:           4
        .value_kind:     by_value
      - .address_space:  global
        .offset:         72
        .size:           8
        .value_kind:     global_buffer
      - .address_space:  global
        .offset:         80
        .size:           8
        .value_kind:     global_buffer
      - .offset:         88
        .size:           4
        .value_kind:     hidden_block_count_x
      - .offset:         92
        .size:           4
        .value_kind:     hidden_block_count_y
      - .offset:         96
        .size:           4
        .value_kind:     hidden_block_count_z
      - .offset:         100
        .size:           2
        .value_kind:     hidden_group_size_x
      - .offset:         102
        .size:           2
        .value_kind:     hidden_group_size_y
      - .offset:         104
        .size:           2
        .value_kind:     hidden_group_size_z
      - .offset:         106
        .size:           2
        .value_kind:     hidden_remainder_x
      - .offset:         108
        .size:           2
        .value_kind:     hidden_remainder_y
      - .offset:         110
        .size:           2
        .value_kind:     hidden_remainder_z
      - .offset:         128
        .size:           8
        .value_kind:     hidden_global_offset_x
      - .offset:         136
        .size:           8
        .value_kind:     hidden_global_offset_y
      - .offset:         144
        .size:           8
        .value_kind:     hidden_global_offset_z
      - .offset:         152
        .size:           2
        .value_kind:     hidden_grid_dims
      - .offset:         208
        .size:           4
        .value_kind:     hidden_dynamic_lds_size
    .group_segment_fixed_size: 0
    .kernarg_segment_align: 8
    .kernarg_segment_size: 344
    .max_flat_workgroup_size: 256
    .name:           bmm_kernel
    .private_segment_fixed_size: 0
    .sgpr_count:     80
    .sgpr_spill_count: 0
    .symbol:         bmm_kernel.kd
    .uniform_work_group_size: 1
    .uses_dynamic_stack: false
    .vgpr_count:     82
    .vgpr_spill_count: 0
    .wavefront_size: 64
amdhsa.target:   amdgcn-amd-amdhsa--gfx950
amdhsa.version:
  - 1
  - 2
...

	.end_amdgpu_metadata
	.section	.debug_line,"",@progbits
.Lline_table_start0:
